;; amdgpu-corpus repo=ROCm/rocFFT kind=compiled arch=gfx1030 opt=O3
	.text
	.amdgcn_target "amdgcn-amd-amdhsa--gfx1030"
	.amdhsa_code_object_version 6
	.protected	fft_rtc_back_len1980_factors_11_2_3_3_5_2_wgs_198_tpt_198_halfLds_dp_op_CI_CI_unitstride_sbrr_dirReg ; -- Begin function fft_rtc_back_len1980_factors_11_2_3_3_5_2_wgs_198_tpt_198_halfLds_dp_op_CI_CI_unitstride_sbrr_dirReg
	.globl	fft_rtc_back_len1980_factors_11_2_3_3_5_2_wgs_198_tpt_198_halfLds_dp_op_CI_CI_unitstride_sbrr_dirReg
	.p2align	8
	.type	fft_rtc_back_len1980_factors_11_2_3_3_5_2_wgs_198_tpt_198_halfLds_dp_op_CI_CI_unitstride_sbrr_dirReg,@function
fft_rtc_back_len1980_factors_11_2_3_3_5_2_wgs_198_tpt_198_halfLds_dp_op_CI_CI_unitstride_sbrr_dirReg: ; @fft_rtc_back_len1980_factors_11_2_3_3_5_2_wgs_198_tpt_198_halfLds_dp_op_CI_CI_unitstride_sbrr_dirReg
; %bb.0:
	s_clause 0x2
	s_load_dwordx4 s[12:15], s[4:5], 0x0
	s_load_dwordx4 s[8:11], s[4:5], 0x58
	;; [unrolled: 1-line block ×3, first 2 shown]
	v_mul_u32_u24_e32 v2, 0x14b, v0
	v_mov_b32_e32 v1, 0
	v_mov_b32_e32 v4, 0
	;; [unrolled: 1-line block ×3, first 2 shown]
	v_add_nc_u32_sdwa v6, s6, v2 dst_sel:DWORD dst_unused:UNUSED_PAD src0_sel:DWORD src1_sel:WORD_1
	v_mov_b32_e32 v7, v1
	s_waitcnt lgkmcnt(0)
	v_cmp_lt_u64_e64 s0, s[14:15], 2
	s_and_b32 vcc_lo, exec_lo, s0
	s_cbranch_vccnz .LBB0_8
; %bb.1:
	s_load_dwordx2 s[0:1], s[4:5], 0x10
	v_mov_b32_e32 v4, 0
	v_mov_b32_e32 v5, 0
	s_add_u32 s2, s18, 8
	s_addc_u32 s3, s19, 0
	s_add_u32 s6, s16, 8
	s_addc_u32 s7, s17, 0
	v_mov_b32_e32 v73, v5
	v_mov_b32_e32 v72, v4
	s_mov_b64 s[22:23], 1
	s_waitcnt lgkmcnt(0)
	s_add_u32 s20, s0, 8
	s_addc_u32 s21, s1, 0
.LBB0_2:                                ; =>This Inner Loop Header: Depth=1
	s_load_dwordx2 s[24:25], s[20:21], 0x0
                                        ; implicit-def: $vgpr74_vgpr75
	s_mov_b32 s0, exec_lo
	s_waitcnt lgkmcnt(0)
	v_or_b32_e32 v2, s25, v7
	v_cmpx_ne_u64_e32 0, v[1:2]
	s_xor_b32 s1, exec_lo, s0
	s_cbranch_execz .LBB0_4
; %bb.3:                                ;   in Loop: Header=BB0_2 Depth=1
	v_cvt_f32_u32_e32 v2, s24
	v_cvt_f32_u32_e32 v3, s25
	s_sub_u32 s0, 0, s24
	s_subb_u32 s26, 0, s25
	v_fmac_f32_e32 v2, 0x4f800000, v3
	v_rcp_f32_e32 v2, v2
	v_mul_f32_e32 v2, 0x5f7ffffc, v2
	v_mul_f32_e32 v3, 0x2f800000, v2
	v_trunc_f32_e32 v3, v3
	v_fmac_f32_e32 v2, 0xcf800000, v3
	v_cvt_u32_f32_e32 v3, v3
	v_cvt_u32_f32_e32 v2, v2
	v_mul_lo_u32 v8, s0, v3
	v_mul_hi_u32 v9, s0, v2
	v_mul_lo_u32 v10, s26, v2
	v_add_nc_u32_e32 v8, v9, v8
	v_mul_lo_u32 v9, s0, v2
	v_add_nc_u32_e32 v8, v8, v10
	v_mul_hi_u32 v10, v2, v9
	v_mul_lo_u32 v11, v2, v8
	v_mul_hi_u32 v12, v2, v8
	v_mul_hi_u32 v13, v3, v9
	v_mul_lo_u32 v9, v3, v9
	v_mul_hi_u32 v14, v3, v8
	v_mul_lo_u32 v8, v3, v8
	v_add_co_u32 v10, vcc_lo, v10, v11
	v_add_co_ci_u32_e32 v11, vcc_lo, 0, v12, vcc_lo
	v_add_co_u32 v9, vcc_lo, v10, v9
	v_add_co_ci_u32_e32 v9, vcc_lo, v11, v13, vcc_lo
	v_add_co_ci_u32_e32 v10, vcc_lo, 0, v14, vcc_lo
	v_add_co_u32 v8, vcc_lo, v9, v8
	v_add_co_ci_u32_e32 v9, vcc_lo, 0, v10, vcc_lo
	v_add_co_u32 v2, vcc_lo, v2, v8
	v_add_co_ci_u32_e32 v3, vcc_lo, v3, v9, vcc_lo
	v_mul_hi_u32 v8, s0, v2
	v_mul_lo_u32 v10, s26, v2
	v_mul_lo_u32 v9, s0, v3
	v_add_nc_u32_e32 v8, v8, v9
	v_mul_lo_u32 v9, s0, v2
	v_add_nc_u32_e32 v8, v8, v10
	v_mul_hi_u32 v10, v2, v9
	v_mul_lo_u32 v11, v2, v8
	v_mul_hi_u32 v12, v2, v8
	v_mul_hi_u32 v13, v3, v9
	v_mul_lo_u32 v9, v3, v9
	v_mul_hi_u32 v14, v3, v8
	v_mul_lo_u32 v8, v3, v8
	v_add_co_u32 v10, vcc_lo, v10, v11
	v_add_co_ci_u32_e32 v11, vcc_lo, 0, v12, vcc_lo
	v_add_co_u32 v9, vcc_lo, v10, v9
	v_add_co_ci_u32_e32 v9, vcc_lo, v11, v13, vcc_lo
	v_add_co_ci_u32_e32 v10, vcc_lo, 0, v14, vcc_lo
	v_add_co_u32 v8, vcc_lo, v9, v8
	v_add_co_ci_u32_e32 v9, vcc_lo, 0, v10, vcc_lo
	v_add_co_u32 v8, vcc_lo, v2, v8
	v_add_co_ci_u32_e32 v10, vcc_lo, v3, v9, vcc_lo
	v_mul_hi_u32 v12, v6, v8
	v_mad_u64_u32 v[8:9], null, v7, v8, 0
	v_mad_u64_u32 v[2:3], null, v6, v10, 0
	;; [unrolled: 1-line block ×3, first 2 shown]
	v_add_co_u32 v2, vcc_lo, v12, v2
	v_add_co_ci_u32_e32 v3, vcc_lo, 0, v3, vcc_lo
	v_add_co_u32 v2, vcc_lo, v2, v8
	v_add_co_ci_u32_e32 v2, vcc_lo, v3, v9, vcc_lo
	v_add_co_ci_u32_e32 v3, vcc_lo, 0, v11, vcc_lo
	v_add_co_u32 v8, vcc_lo, v2, v10
	v_add_co_ci_u32_e32 v9, vcc_lo, 0, v3, vcc_lo
	v_mul_lo_u32 v10, s25, v8
	v_mad_u64_u32 v[2:3], null, s24, v8, 0
	v_mul_lo_u32 v11, s24, v9
	v_sub_co_u32 v2, vcc_lo, v6, v2
	v_add3_u32 v3, v3, v11, v10
	v_sub_nc_u32_e32 v10, v7, v3
	v_subrev_co_ci_u32_e64 v10, s0, s25, v10, vcc_lo
	v_add_co_u32 v11, s0, v8, 2
	v_add_co_ci_u32_e64 v12, s0, 0, v9, s0
	v_sub_co_u32 v13, s0, v2, s24
	v_sub_co_ci_u32_e32 v3, vcc_lo, v7, v3, vcc_lo
	v_subrev_co_ci_u32_e64 v10, s0, 0, v10, s0
	v_cmp_le_u32_e32 vcc_lo, s24, v13
	v_cmp_eq_u32_e64 s0, s25, v3
	v_cndmask_b32_e64 v13, 0, -1, vcc_lo
	v_cmp_le_u32_e32 vcc_lo, s25, v10
	v_cndmask_b32_e64 v14, 0, -1, vcc_lo
	v_cmp_le_u32_e32 vcc_lo, s24, v2
	;; [unrolled: 2-line block ×3, first 2 shown]
	v_cndmask_b32_e64 v15, 0, -1, vcc_lo
	v_cmp_eq_u32_e32 vcc_lo, s25, v10
	v_cndmask_b32_e64 v2, v15, v2, s0
	v_cndmask_b32_e32 v10, v14, v13, vcc_lo
	v_add_co_u32 v13, vcc_lo, v8, 1
	v_add_co_ci_u32_e32 v14, vcc_lo, 0, v9, vcc_lo
	v_cmp_ne_u32_e32 vcc_lo, 0, v10
	v_cndmask_b32_e32 v3, v14, v12, vcc_lo
	v_cndmask_b32_e32 v10, v13, v11, vcc_lo
	v_cmp_ne_u32_e32 vcc_lo, 0, v2
	v_cndmask_b32_e32 v75, v9, v3, vcc_lo
	v_cndmask_b32_e32 v74, v8, v10, vcc_lo
.LBB0_4:                                ;   in Loop: Header=BB0_2 Depth=1
	s_andn2_saveexec_b32 s0, s1
	s_cbranch_execz .LBB0_6
; %bb.5:                                ;   in Loop: Header=BB0_2 Depth=1
	v_cvt_f32_u32_e32 v2, s24
	s_sub_i32 s1, 0, s24
	v_mov_b32_e32 v75, v1
	v_rcp_iflag_f32_e32 v2, v2
	v_mul_f32_e32 v2, 0x4f7ffffe, v2
	v_cvt_u32_f32_e32 v2, v2
	v_mul_lo_u32 v3, s1, v2
	v_mul_hi_u32 v3, v2, v3
	v_add_nc_u32_e32 v2, v2, v3
	v_mul_hi_u32 v2, v6, v2
	v_mul_lo_u32 v3, v2, s24
	v_add_nc_u32_e32 v8, 1, v2
	v_sub_nc_u32_e32 v3, v6, v3
	v_subrev_nc_u32_e32 v9, s24, v3
	v_cmp_le_u32_e32 vcc_lo, s24, v3
	v_cndmask_b32_e32 v3, v3, v9, vcc_lo
	v_cndmask_b32_e32 v2, v2, v8, vcc_lo
	v_cmp_le_u32_e32 vcc_lo, s24, v3
	v_add_nc_u32_e32 v8, 1, v2
	v_cndmask_b32_e32 v74, v2, v8, vcc_lo
.LBB0_6:                                ;   in Loop: Header=BB0_2 Depth=1
	s_or_b32 exec_lo, exec_lo, s0
	v_mul_lo_u32 v8, v75, s24
	v_mul_lo_u32 v9, v74, s25
	s_load_dwordx2 s[0:1], s[6:7], 0x0
	v_mad_u64_u32 v[2:3], null, v74, s24, 0
	s_load_dwordx2 s[24:25], s[2:3], 0x0
	s_add_u32 s22, s22, 1
	s_addc_u32 s23, s23, 0
	s_add_u32 s2, s2, 8
	s_addc_u32 s3, s3, 0
	s_add_u32 s6, s6, 8
	v_add3_u32 v3, v3, v9, v8
	v_sub_co_u32 v2, vcc_lo, v6, v2
	s_addc_u32 s7, s7, 0
	s_add_u32 s20, s20, 8
	v_sub_co_ci_u32_e32 v3, vcc_lo, v7, v3, vcc_lo
	s_addc_u32 s21, s21, 0
	s_waitcnt lgkmcnt(0)
	v_mul_lo_u32 v6, s0, v3
	v_mul_lo_u32 v7, s1, v2
	v_mad_u64_u32 v[4:5], null, s0, v2, v[4:5]
	v_mul_lo_u32 v3, s24, v3
	v_mul_lo_u32 v8, s25, v2
	v_mad_u64_u32 v[72:73], null, s24, v2, v[72:73]
	v_cmp_ge_u64_e64 s0, s[22:23], s[14:15]
	v_add3_u32 v5, v7, v5, v6
	v_add3_u32 v73, v8, v73, v3
	s_and_b32 vcc_lo, exec_lo, s0
	s_cbranch_vccnz .LBB0_9
; %bb.7:                                ;   in Loop: Header=BB0_2 Depth=1
	v_mov_b32_e32 v6, v74
	v_mov_b32_e32 v7, v75
	s_branch .LBB0_2
.LBB0_8:
	v_mov_b32_e32 v73, v5
	v_mov_b32_e32 v75, v7
	;; [unrolled: 1-line block ×4, first 2 shown]
.LBB0_9:
	s_load_dwordx2 s[0:1], s[4:5], 0x28
	v_mul_hi_u32 v1, 0x14afd6b, v0
	s_lshl_b64 s[4:5], s[14:15], 3
                                        ; implicit-def: $vgpr2_vgpr3
                                        ; implicit-def: $vgpr6_vgpr7
                                        ; implicit-def: $vgpr10_vgpr11
                                        ; implicit-def: $vgpr18_vgpr19
                                        ; implicit-def: $vgpr26_vgpr27
                                        ; implicit-def: $vgpr22_vgpr23
                                        ; implicit-def: $vgpr30_vgpr31
                                        ; implicit-def: $vgpr34_vgpr35
                                        ; implicit-def: $vgpr38_vgpr39
                                        ; implicit-def: $vgpr42_vgpr43
                                        ; implicit-def: $vgpr14_vgpr15
	s_add_u32 s2, s18, s4
	s_addc_u32 s3, s19, s5
	v_mul_u32_u24_e32 v1, 0xc6, v1
	v_sub_nc_u32_e32 v76, v0, v1
	s_waitcnt lgkmcnt(0)
	v_cmp_gt_u64_e32 vcc_lo, s[0:1], v[74:75]
	v_cmp_gt_u32_e64 s0, 0xb4, v76
	s_and_b32 s1, vcc_lo, s0
	s_and_saveexec_b32 s6, s1
	s_cbranch_execz .LBB0_11
; %bb.10:
	s_add_u32 s4, s16, s4
	s_addc_u32 s5, s17, s5
	v_mov_b32_e32 v77, 0
	s_load_dwordx2 s[4:5], s[4:5], 0x0
	s_waitcnt lgkmcnt(0)
	v_mul_lo_u32 v2, s5, v74
	v_mul_lo_u32 v3, s4, v75
	v_mad_u64_u32 v[0:1], null, s4, v74, 0
	v_add3_u32 v1, v1, v3, v2
	v_lshlrev_b64 v[2:3], 4, v[4:5]
	v_lshlrev_b64 v[0:1], 4, v[0:1]
	v_add_co_u32 v4, s1, s8, v0
	v_add_co_ci_u32_e64 v5, s1, s9, v1, s1
	v_lshlrev_b64 v[0:1], 4, v[76:77]
	v_add_co_u32 v2, s1, v4, v2
	v_add_co_ci_u32_e64 v3, s1, v5, v3, s1
	v_add_co_u32 v0, s1, v2, v0
	v_add_co_ci_u32_e64 v1, s1, v3, v1, s1
	v_add_co_u32 v2, s1, 0x800, v0
	v_add_co_ci_u32_e64 v3, s1, 0, v1, s1
	v_add_co_u32 v4, s1, 0x1000, v0
	v_add_co_ci_u32_e64 v5, s1, 0, v1, s1
	v_add_co_u32 v6, s1, 0x2000, v0
	v_add_co_ci_u32_e64 v7, s1, 0, v1, s1
	v_add_co_u32 v8, s1, 0x2800, v0
	v_add_co_ci_u32_e64 v9, s1, 0, v1, s1
	v_add_co_u32 v10, s1, 0x3800, v0
	v_add_co_ci_u32_e64 v11, s1, 0, v1, s1
	v_add_co_u32 v16, s1, 0x4000, v0
	v_add_co_ci_u32_e64 v17, s1, 0, v1, s1
	v_add_co_u32 v18, s1, 0x4800, v0
	v_add_co_ci_u32_e64 v19, s1, 0, v1, s1
	v_add_co_u32 v44, s1, 0x5800, v0
	v_add_co_ci_u32_e64 v45, s1, 0, v1, s1
	s_clause 0x5
	global_load_dwordx4 v[12:15], v[0:1], off
	global_load_dwordx4 v[40:43], v[2:3], off offset:832
	global_load_dwordx4 v[36:39], v[4:5], off offset:1664
	;; [unrolled: 1-line block ×5, first 2 shown]
	v_add_co_u32 v2, s1, 0x6000, v0
	v_add_co_ci_u32_e64 v3, s1, 0, v1, s1
	v_add_co_u32 v0, s1, 0x7000, v0
	v_add_co_ci_u32_e64 v1, s1, 0, v1, s1
	s_clause 0x4
	global_load_dwordx4 v[24:27], v[16:17], off offset:896
	global_load_dwordx4 v[16:19], v[18:19], off offset:1728
	;; [unrolled: 1-line block ×5, first 2 shown]
.LBB0_11:
	s_or_b32 exec_lo, exec_lo, s6
	s_waitcnt vmcnt(0)
	v_add_f64 v[50:51], v[42:43], -v[2:3]
	s_mov_b32 s14, 0xf8bb580b
	s_mov_b32 s15, 0xbfe14ced
	v_add_f64 v[68:69], v[0:1], v[40:41]
	v_add_f64 v[52:53], v[38:39], -v[6:7]
	s_mov_b32 s4, 0x8764f0ba
	s_mov_b32 s18, 0x8eee2c13
	s_mov_b32 s5, 0x3feaeb8c
	s_mov_b32 s19, 0xbfed1bb4
	v_add_f64 v[70:71], v[4:5], v[36:37]
	v_add_f64 v[56:57], v[34:35], -v[10:11]
	s_mov_b32 s6, 0xd9c712b6
	s_mov_b32 s22, 0x43842ef
	;; [unrolled: 6-line block ×3, first 2 shown]
	s_mov_b32 s9, 0xbfc2375f
	s_mov_b32 s25, 0xbfe82f19
	v_add_f64 v[66:67], v[16:17], v[28:29]
	v_mul_f64 v[58:59], v[50:51], s[14:15]
	s_mov_b32 s16, 0x7f775887
	s_mov_b32 s26, 0xfd768dbf
	;; [unrolled: 1-line block ×3, first 2 shown]
	v_mul_f64 v[62:63], v[52:53], s[18:19]
	s_mov_b32 s27, 0xbfd207e7
	v_add_f64 v[60:61], v[24:25], v[20:21]
	s_mov_b32 s20, 0x9bcd5057
	s_mov_b32 s21, 0xbfeeb42a
	v_mul_f64 v[64:65], v[56:57], s[22:23]
	v_mul_f64 v[48:49], v[44:45], s[24:25]
	v_fma_f64 v[46:47], v[68:69], s[4:5], -v[58:59]
	v_fma_f64 v[54:55], v[70:71], s[6:7], -v[62:63]
	;; [unrolled: 1-line block ×4, first 2 shown]
	v_add_f64 v[46:47], v[12:13], v[46:47]
	v_add_f64 v[54:55], v[54:55], v[46:47]
	v_add_f64 v[46:47], v[22:23], -v[26:27]
	v_add_f64 v[79:80], v[79:80], v[54:55]
	v_mul_f64 v[54:55], v[46:47], s[26:27]
	v_add_f64 v[79:80], v[81:82], v[79:80]
	v_fma_f64 v[81:82], v[60:61], s[20:21], -v[54:55]
	v_add_f64 v[85:86], v[81:82], v[79:80]
	s_and_saveexec_b32 s1, s0
	s_cbranch_execz .LBB0_13
; %bb.12:
	v_add_f64 v[79:80], v[40:41], v[12:13]
	v_mul_f64 v[81:82], v[68:69], s[20:21]
	v_mul_f64 v[83:84], v[68:69], s[16:17]
	;; [unrolled: 1-line block ×5, first 2 shown]
	s_mov_b32 s31, 0x3fe82f19
	s_mov_b32 s30, s24
	;; [unrolled: 1-line block ×4, first 2 shown]
	v_mul_f64 v[91:92], v[70:71], s[4:5]
	v_mul_f64 v[101:102], v[70:71], s[8:9]
	;; [unrolled: 1-line block ×5, first 2 shown]
	s_mov_b32 s29, 0x3fefac9e
	s_mov_b32 s28, s22
	;; [unrolled: 1-line block ×6, first 2 shown]
	v_mul_f64 v[93:94], v[77:78], s[16:17]
	v_add_f64 v[79:80], v[36:37], v[79:80]
	v_fma_f64 v[107:108], v[50:51], s[38:39], v[81:82]
	v_fma_f64 v[81:82], v[50:51], s[26:27], v[81:82]
	;; [unrolled: 1-line block ×8, first 2 shown]
	v_add_f64 v[58:59], v[58:59], v[68:69]
	v_mul_f64 v[95:96], v[77:78], s[4:5]
	v_mul_f64 v[97:98], v[77:78], s[6:7]
	;; [unrolled: 1-line block ×4, first 2 shown]
	v_fma_f64 v[89:90], v[52:53], s[14:15], v[91:92]
	v_fma_f64 v[91:92], v[52:53], s[36:37], v[91:92]
	;; [unrolled: 1-line block ×8, first 2 shown]
	v_add_f64 v[79:80], v[32:33], v[79:80]
	v_add_f64 v[107:108], v[12:13], v[107:108]
	;; [unrolled: 1-line block ×11, first 2 shown]
	v_mul_f64 v[109:110], v[66:67], s[6:7]
	v_fma_f64 v[117:118], v[56:57], s[30:31], v[93:94]
	v_fma_f64 v[93:94], v[56:57], s[24:25], v[93:94]
	;; [unrolled: 1-line block ×5, first 2 shown]
	v_add_f64 v[64:65], v[64:65], v[77:78]
	v_mul_f64 v[77:78], v[66:67], s[8:9]
	v_add_f64 v[79:80], v[28:29], v[79:80]
	v_add_f64 v[89:90], v[89:90], v[107:108]
	;; [unrolled: 1-line block ×3, first 2 shown]
	v_mul_f64 v[107:108], v[60:61], s[8:9]
	v_add_f64 v[70:71], v[119:120], v[70:71]
	v_add_f64 v[83:84], v[101:102], v[83:84]
	v_add_f64 v[101:102], v[103:104], v[105:106]
	v_add_f64 v[52:53], v[52:53], v[111:112]
	v_add_f64 v[87:88], v[121:122], v[87:88]
	v_add_f64 v[50:51], v[123:124], v[50:51]
	v_add_f64 v[12:13], v[62:63], v[12:13]
	v_mul_f64 v[91:92], v[60:61], s[6:7]
	v_mul_f64 v[62:63], v[60:61], s[16:17]
	;; [unrolled: 1-line block ×4, first 2 shown]
	v_fma_f64 v[105:106], v[44:45], s[18:19], v[109:110]
	v_fma_f64 v[109:110], v[44:45], s[34:35], v[109:110]
	;; [unrolled: 1-line block ×3, first 2 shown]
	v_add_f64 v[68:69], v[20:21], v[79:80]
	v_mul_f64 v[79:80], v[66:67], s[20:21]
	v_add_f64 v[50:51], v[115:116], v[50:51]
	v_add_f64 v[12:13], v[64:65], v[12:13]
	v_fma_f64 v[64:65], v[46:47], s[28:29], v[107:108]
	v_add_f64 v[54:55], v[54:55], v[60:61]
	v_add_f64 v[58:59], v[24:25], v[68:69]
	v_fma_f64 v[68:69], v[56:57], s[36:37], v[95:96]
	v_fma_f64 v[95:96], v[56:57], s[14:15], v[95:96]
	;; [unrolled: 1-line block ×3, first 2 shown]
	v_mul_f64 v[99:100], v[66:67], s[4:5]
	v_mul_f64 v[66:67], v[66:67], s[16:17]
	v_fma_f64 v[111:112], v[44:45], s[38:39], v[79:80]
	v_fma_f64 v[79:80], v[44:45], s[26:27], v[79:80]
	v_add_f64 v[50:51], v[121:122], v[50:51]
	v_add_f64 v[58:59], v[16:17], v[58:59]
	;; [unrolled: 1-line block ×5, first 2 shown]
	v_fma_f64 v[119:120], v[44:45], s[36:37], v[99:100]
	v_fma_f64 v[99:100], v[44:45], s[14:15], v[99:100]
	;; [unrolled: 1-line block ×3, first 2 shown]
	v_add_f64 v[48:49], v[48:49], v[66:67]
	v_add_f64 v[66:67], v[117:118], v[89:90]
	;; [unrolled: 1-line block ×5, first 2 shown]
	v_fma_f64 v[83:84], v[46:47], s[22:23], v[107:108]
	v_fma_f64 v[87:88], v[46:47], s[18:19], v[91:92]
	;; [unrolled: 1-line block ×7, first 2 shown]
	v_add_f64 v[58:59], v[8:9], v[58:59]
	v_add_f64 v[68:69], v[111:112], v[68:69]
	;; [unrolled: 1-line block ×19, first 2 shown]
	v_mad_u32_u24 v52, 0x58, v76, 0
	v_add_f64 v[48:49], v[0:1], v[48:49]
	ds_write2_b64 v52, v[44:45], v[62:63] offset0:2 offset1:3
	ds_write2_b64 v52, v[64:65], v[58:59] offset0:4 offset1:5
	;; [unrolled: 1-line block ×4, first 2 shown]
	ds_write2_b64 v52, v[48:49], v[12:13] offset1:1
	ds_write_b64 v52, v[85:86] offset:80
.LBB0_13:
	s_or_b32 exec_lo, exec_lo, s1
	v_add_f64 v[79:80], v[40:41], -v[0:1]
	v_add_f64 v[64:65], v[2:3], v[42:43]
	v_add_f64 v[77:78], v[36:37], -v[4:5]
	v_add_f64 v[36:37], v[6:7], v[38:39]
	v_add_f64 v[68:69], v[32:33], -v[8:9]
	v_add_f64 v[32:33], v[10:11], v[34:35]
	v_add_f64 v[40:41], v[28:29], -v[16:17]
	v_add_f64 v[8:9], v[18:19], v[30:31]
	v_add_f64 v[16:17], v[20:21], -v[24:25]
	v_lshl_add_u32 v91, v76, 3, 0
	s_waitcnt lgkmcnt(0)
	s_barrier
	buffer_gl0_inv
	v_add_nc_u32_e32 v83, 0x1800, v91
	v_add_nc_u32_e32 v89, 0x2400, v91
	;; [unrolled: 1-line block ×4, first 2 shown]
	ds_read2_b64 v[56:59], v91 offset1:198
	ds_read2_b64 v[52:55], v83 offset0:24 offset1:222
	v_mul_f64 v[70:71], v[79:80], s[14:15]
	v_mul_f64 v[66:67], v[77:78], s[18:19]
	;; [unrolled: 1-line block ×4, first 2 shown]
	v_fma_f64 v[0:1], v[64:65], s[4:5], v[70:71]
	v_fma_f64 v[4:5], v[36:37], s[6:7], v[66:67]
	;; [unrolled: 1-line block ×4, first 2 shown]
	v_add_f64 v[0:1], v[14:15], v[0:1]
	v_add_f64 v[24:25], v[4:5], v[0:1]
	;; [unrolled: 1-line block ×3, first 2 shown]
	v_mul_f64 v[4:5], v[16:17], s[26:27]
	v_add_f64 v[20:21], v[20:21], v[24:25]
	v_fma_f64 v[24:25], v[0:1], s[20:21], v[4:5]
	v_add_f64 v[20:21], v[44:45], v[20:21]
	ds_read2_b64 v[48:51], v89 offset0:36 offset1:234
	ds_read2_b64 v[60:63], v81 offset0:12 offset1:210
	;; [unrolled: 1-line block ×3, first 2 shown]
	s_waitcnt lgkmcnt(0)
	s_barrier
	buffer_gl0_inv
	v_add_f64 v[87:88], v[24:25], v[20:21]
	s_and_saveexec_b32 s28, s0
	s_cbranch_execz .LBB0_15
; %bb.14:
	v_add_f64 v[20:21], v[42:43], v[14:15]
	s_mov_b32 s14, 0x43842ef
	s_mov_b32 s15, 0xbfefac9e
	;; [unrolled: 1-line block ×4, first 2 shown]
	v_mul_f64 v[24:25], v[64:65], s[4:5]
	v_mul_f64 v[96:97], v[79:80], s[14:15]
	;; [unrolled: 1-line block ×3, first 2 shown]
	s_mov_b32 s0, 0xd9c712b6
	s_mov_b32 s4, 0x640f44db
	;; [unrolled: 1-line block ×3, first 2 shown]
	v_mul_f64 v[42:43], v[32:33], s[8:9]
	v_mul_f64 v[92:93], v[8:9], s[16:17]
	s_mov_b32 s1, 0x3fda9628
	s_mov_b32 s5, 0xbfc2375f
	;; [unrolled: 1-line block ×9, first 2 shown]
	v_add_f64 v[20:21], v[38:39], v[20:21]
	v_mul_f64 v[38:39], v[36:37], s[6:7]
	s_mov_b32 s7, 0xbfed1bb4
	s_mov_b32 s6, 0x8eee2c13
	s_mov_b32 s9, 0xbfe4f49e
	s_mov_b32 s17, 0xbfeeb42a
	v_mul_f64 v[100:101], v[77:78], s[30:31]
	v_mul_f64 v[104:105], v[77:78], s[24:25]
	v_add_f64 v[24:25], v[24:25], -v[70:71]
	v_fma_f64 v[110:111], v[64:65], s[4:5], -v[96:97]
	v_fma_f64 v[112:113], v[64:65], s[8:9], -v[98:99]
	v_fma_f64 v[98:99], v[64:65], s[8:9], v[98:99]
	v_mul_f64 v[94:95], v[0:1], s[20:21]
	s_mov_b32 s20, 0x8764f0ba
	s_mov_b32 s21, 0x3feaeb8c
	;; [unrolled: 1-line block ×4, first 2 shown]
	v_mul_f64 v[102:103], v[68:69], s[18:19]
	v_add_f64 v[28:29], v[42:43], -v[28:29]
	v_mul_f64 v[106:107], v[40:41], s[26:27]
	v_mul_f64 v[108:109], v[16:17], s[30:31]
	v_add_f64 v[12:13], v[92:93], -v[12:13]
	v_add_f64 v[20:21], v[34:35], v[20:21]
	v_mul_f64 v[34:35], v[79:80], s[6:7]
	v_mul_f64 v[79:80], v[79:80], s[26:27]
	s_mov_b32 s7, 0x3fed1bb4
	v_add_f64 v[38:39], v[38:39], -v[66:67]
	v_fma_f64 v[116:117], v[36:37], s[20:21], -v[100:101]
	v_fma_f64 v[100:101], v[36:37], s[20:21], v[100:101]
	v_fma_f64 v[118:119], v[36:37], s[16:17], -v[104:105]
	v_fma_f64 v[104:105], v[36:37], s[16:17], v[104:105]
	v_add_f64 v[24:25], v[14:15], v[24:25]
	v_add_f64 v[98:99], v[14:15], v[98:99]
	v_add_f64 v[4:5], v[94:95], -v[4:5]
	v_fma_f64 v[42:43], v[32:33], s[8:9], -v[102:103]
	v_fma_f64 v[102:103], v[32:33], s[8:9], v[102:103]
	v_fma_f64 v[92:93], v[8:9], s[16:17], v[106:107]
	v_add_f64 v[20:21], v[30:31], v[20:21]
	v_mul_f64 v[30:31], v[77:78], s[18:19]
	v_mul_f64 v[77:78], v[77:78], s[22:23]
	v_fma_f64 v[70:71], v[64:65], s[0:1], -v[34:35]
	v_fma_f64 v[34:35], v[64:65], s[0:1], v[34:35]
	v_fma_f64 v[114:115], v[64:65], s[16:17], -v[79:80]
	v_fma_f64 v[79:80], v[64:65], s[16:17], v[79:80]
	v_fma_f64 v[64:65], v[64:65], s[4:5], v[96:97]
	v_mul_f64 v[96:97], v[68:69], s[6:7]
	v_add_f64 v[24:25], v[38:39], v[24:25]
	v_add_f64 v[20:21], v[22:23], v[20:21]
	v_mul_f64 v[22:23], v[68:69], s[24:25]
	v_fma_f64 v[66:67], v[36:37], s[8:9], -v[30:31]
	v_fma_f64 v[30:31], v[36:37], s[8:9], v[30:31]
	v_fma_f64 v[120:121], v[36:37], s[4:5], -v[77:78]
	v_fma_f64 v[36:37], v[36:37], s[4:5], v[77:78]
	v_add_f64 v[70:71], v[14:15], v[70:71]
	v_add_f64 v[34:35], v[14:15], v[34:35]
	;; [unrolled: 1-line block ×3, first 2 shown]
	v_mul_f64 v[68:69], v[68:69], s[34:35]
	v_add_f64 v[110:111], v[14:15], v[112:113]
	v_add_f64 v[112:113], v[14:15], v[114:115]
	;; [unrolled: 1-line block ×4, first 2 shown]
	v_mul_f64 v[64:65], v[40:41], s[34:35]
	v_fma_f64 v[122:123], v[32:33], s[0:1], -v[96:97]
	v_fma_f64 v[96:97], v[32:33], s[0:1], v[96:97]
	v_add_f64 v[24:25], v[28:29], v[24:25]
	v_add_f64 v[20:21], v[26:27], v[20:21]
	v_mul_f64 v[26:27], v[40:41], s[22:23]
	v_fma_f64 v[114:115], v[32:33], s[16:17], -v[22:23]
	v_fma_f64 v[22:23], v[32:33], s[16:17], v[22:23]
	v_mul_f64 v[40:41], v[40:41], s[6:7]
	v_add_f64 v[36:37], v[36:37], v[98:99]
	v_add_f64 v[38:39], v[66:67], v[70:71]
	;; [unrolled: 1-line block ×4, first 2 shown]
	v_fma_f64 v[124:125], v[32:33], s[20:21], -v[68:69]
	v_fma_f64 v[32:33], v[32:33], s[20:21], v[68:69]
	v_add_f64 v[66:67], v[120:121], v[110:111]
	v_add_f64 v[68:69], v[116:117], v[112:113]
	;; [unrolled: 1-line block ×4, first 2 shown]
	v_mul_f64 v[77:78], v[16:17], s[14:15]
	v_fma_f64 v[100:101], v[8:9], s[20:21], -v[64:65]
	v_fma_f64 v[79:80], v[8:9], s[16:17], -v[106:107]
	v_fma_f64 v[64:65], v[8:9], s[20:21], v[64:65]
	v_add_f64 v[12:13], v[12:13], v[24:25]
	v_add_f64 v[18:19], v[18:19], v[20:21]
	v_mul_f64 v[20:21], v[16:17], s[18:19]
	v_mul_f64 v[16:17], v[16:17], s[6:7]
	v_fma_f64 v[98:99], v[8:9], s[4:5], -v[26:27]
	v_fma_f64 v[26:27], v[8:9], s[4:5], v[26:27]
	v_fma_f64 v[104:105], v[8:9], s[0:1], -v[40:41]
	v_add_f64 v[28:29], v[114:115], v[38:39]
	v_add_f64 v[22:23], v[22:23], v[30:31]
	v_add_f64 v[30:31], v[122:123], v[34:35]
	v_fma_f64 v[8:9], v[8:9], s[0:1], v[40:41]
	v_add_f64 v[32:33], v[32:33], v[36:37]
	v_add_f64 v[34:35], v[124:125], v[66:67]
	;; [unrolled: 1-line block ×5, first 2 shown]
	v_fma_f64 v[40:41], v[0:1], s[20:21], v[108:109]
	v_fma_f64 v[66:67], v[0:1], s[4:5], -v[77:78]
	v_fma_f64 v[68:69], v[0:1], s[4:5], v[77:78]
	v_add_f64 v[4:5], v[4:5], v[12:13]
	v_add_f64 v[10:11], v[10:11], v[18:19]
	v_fma_f64 v[18:19], v[0:1], s[20:21], -v[108:109]
	v_fma_f64 v[42:43], v[0:1], s[8:9], -v[20:21]
	v_fma_f64 v[20:21], v[0:1], s[8:9], v[20:21]
	v_fma_f64 v[70:71], v[0:1], s[0:1], -v[16:17]
	v_fma_f64 v[0:1], v[0:1], s[0:1], v[16:17]
	v_add_f64 v[16:17], v[98:99], v[28:29]
	v_add_f64 v[22:23], v[26:27], v[22:23]
	;; [unrolled: 1-line block ×18, first 2 shown]
	v_mad_u32_u24 v6, 0x50, v76, v91
	ds_write2_b64 v6, v[10:11], v[16:17] offset0:2 offset1:3
	ds_write2_b64 v6, v[18:19], v[22:23] offset0:4 offset1:5
	;; [unrolled: 1-line block ×4, first 2 shown]
	ds_write2_b64 v6, v[2:3], v[4:5] offset1:1
	ds_write_b64 v6, v[87:88] offset:80
.LBB0_15:
	s_or_b32 exec_lo, exec_lo, s28
	v_and_b32_e32 v77, 0xff, v76
	v_add_nc_u32_e32 v84, 0xc6, v76
	v_mov_b32_e32 v2, 0xba2f
	v_add_nc_u32_e32 v82, 0x18c, v76
	v_add_nc_u32_e32 v80, 0x252, v76
	v_mul_lo_u16 v0, 0x75, v77
	v_add_nc_u32_e32 v78, 0x318, v76
	v_mov_b32_e32 v3, 4
	v_mul_u32_u24_sdwa v4, v82, v2 dst_sel:DWORD dst_unused:UNUSED_PAD src0_sel:WORD_0 src1_sel:DWORD
	v_mul_u32_u24_sdwa v5, v80, v2 dst_sel:DWORD dst_unused:UNUSED_PAD src0_sel:WORD_0 src1_sel:DWORD
	v_lshrrev_b16 v0, 8, v0
	s_load_dwordx2 s[2:3], s[2:3], 0x0
	s_waitcnt lgkmcnt(0)
	v_lshrrev_b32_e32 v93, 19, v4
	v_lshrrev_b32_e32 v94, 19, v5
	v_sub_nc_u16 v1, v76, v0
	s_barrier
	buffer_gl0_inv
	v_mov_b32_e32 v101, 3
	v_mul_lo_u16 v4, v94, 11
	v_lshrrev_b16 v1, 1, v1
	v_add_nc_u32_e32 v79, 0x1400, v91
	v_cmp_gt_u32_e64 s0, 0x42, v76
	v_sub_nc_u16 v99, v80, v4
	v_and_b32_e32 v1, 0x7f, v1
	v_lshlrev_b32_sdwa v4, v3, v99 dst_sel:DWORD dst_unused:UNUSED_PAD src0_sel:DWORD src1_sel:WORD_0
	v_add_nc_u16 v0, v1, v0
	v_mul_u32_u24_sdwa v1, v84, v2 dst_sel:DWORD dst_unused:UNUSED_PAD src0_sel:WORD_0 src1_sel:DWORD
	v_mul_u32_u24_sdwa v2, v78, v2 dst_sel:DWORD dst_unused:UNUSED_PAD src0_sel:WORD_0 src1_sel:DWORD
	v_lshrrev_b16 v92, 3, v0
	v_lshrrev_b32_e32 v14, 19, v1
	v_lshrrev_b32_e32 v95, 19, v2
	v_mul_lo_u16 v2, v93, 11
	v_mul_lo_u16 v0, v92, 11
	;; [unrolled: 1-line block ×4, first 2 shown]
	v_sub_nc_u16 v98, v82, v2
	v_mul_u32_u24_e32 v102, 0xb0, v14
	v_sub_nc_u16 v96, v76, v0
	v_sub_nc_u16 v97, v84, v1
	;; [unrolled: 1-line block ×3, first 2 shown]
	v_lshlrev_b32_sdwa v2, v3, v98 dst_sel:DWORD dst_unused:UNUSED_PAD src0_sel:DWORD src1_sel:WORD_0
	v_lshlrev_b32_sdwa v0, v3, v96 dst_sel:DWORD dst_unused:UNUSED_PAD src0_sel:DWORD src1_sel:BYTE_0
	v_lshlrev_b32_sdwa v1, v3, v97 dst_sel:DWORD dst_unused:UNUSED_PAD src0_sel:DWORD src1_sel:WORD_0
	v_lshlrev_b32_sdwa v3, v3, v100 dst_sel:DWORD dst_unused:UNUSED_PAD src0_sel:DWORD src1_sel:WORD_0
	s_clause 0x4
	global_load_dwordx4 v[16:19], v0, s[12:13]
	global_load_dwordx4 v[20:23], v1, s[12:13]
	;; [unrolled: 1-line block ×5, first 2 shown]
	ds_read2_b64 v[0:3], v83 offset0:24 offset1:222
	ds_read2_b64 v[40:43], v89 offset0:36 offset1:234
	;; [unrolled: 1-line block ×3, first 2 shown]
	v_mov_b32_e32 v83, 0xb0
	ds_read2_b64 v[68:71], v91 offset1:198
	ds_read2_b64 v[64:67], v81 offset0:12 offset1:210
	v_add_nc_u32_e32 v81, 0x2800, v91
	s_waitcnt vmcnt(0) lgkmcnt(0)
	s_barrier
	v_mul_u32_u24_sdwa v92, v92, v83 dst_sel:DWORD dst_unused:UNUSED_PAD src0_sel:WORD_0 src1_sel:DWORD
	buffer_gl0_inv
	v_mul_f64 v[4:5], v[2:3], v[18:19]
	v_mul_f64 v[6:7], v[40:41], v[22:23]
	;; [unrolled: 1-line block ×5, first 2 shown]
	v_fma_f64 v[4:5], v[54:55], v[16:17], v[4:5]
	v_fma_f64 v[6:7], v[48:49], v[20:21], v[6:7]
	;; [unrolled: 1-line block ×5, first 2 shown]
	v_add_f64 v[4:5], v[56:57], -v[4:5]
	v_add_f64 v[6:7], v[58:59], -v[6:7]
	;; [unrolled: 1-line block ×5, first 2 shown]
	v_fma_f64 v[12:13], v[56:57], 2.0, -v[4:5]
	v_fma_f64 v[14:15], v[58:59], 2.0, -v[6:7]
	;; [unrolled: 1-line block ×5, first 2 shown]
	v_mul_u32_u24_e32 v60, 0xb0, v93
	v_mul_u32_u24_e32 v61, 0xb0, v94
	v_mul_u32_u24_e32 v94, 0xb0, v95
	v_lshlrev_b32_sdwa v93, v101, v99 dst_sel:DWORD dst_unused:UNUSED_PAD src0_sel:DWORD src1_sel:WORD_0
	v_lshlrev_b32_sdwa v95, v101, v96 dst_sel:DWORD dst_unused:UNUSED_PAD src0_sel:DWORD src1_sel:BYTE_0
	v_lshlrev_b32_sdwa v62, v101, v97 dst_sel:DWORD dst_unused:UNUSED_PAD src0_sel:DWORD src1_sel:WORD_0
	v_lshlrev_b32_sdwa v63, v101, v98 dst_sel:DWORD dst_unused:UNUSED_PAD src0_sel:DWORD src1_sel:WORD_0
	;; [unrolled: 1-line block ×3, first 2 shown]
	v_add3_u32 v83, 0, v61, v93
	v_add3_u32 v93, 0, v92, v95
	;; [unrolled: 1-line block ×5, first 2 shown]
                                        ; implicit-def: $vgpr60_vgpr61
	ds_write2_b64 v93, v[12:13], v[4:5] offset1:11
	ds_write2_b64 v62, v[14:15], v[6:7] offset1:11
	ds_write2_b64 v63, v[56:57], v[8:9] offset1:11
	ds_write2_b64 v83, v[58:59], v[10:11] offset1:11
	ds_write2_b64 v92, v[52:53], v[89:90] offset1:11
	s_waitcnt lgkmcnt(0)
	s_barrier
	buffer_gl0_inv
	ds_read2_b64 v[4:7], v91 offset1:198
	ds_read2_b64 v[8:11], v79 offset0:20 offset1:218
	ds_read2_b64 v[12:15], v81 offset0:40 offset1:238
	ds_read_b64 v[52:53], v91 offset:3168
	ds_read_b64 v[56:57], v91 offset:8448
	;; [unrolled: 1-line block ×3, first 2 shown]
	s_and_saveexec_b32 s1, s0
	s_cbranch_execz .LBB0_17
; %bb.16:
	ds_read_b64 v[89:90], v91 offset:4752
	ds_read_b64 v[85:86], v91 offset:10032
	ds_read_b64 v[60:61], v91 offset:15312
.LBB0_17:
	s_or_b32 exec_lo, exec_lo, s1
	v_mul_f64 v[18:19], v[54:55], v[18:19]
	v_mul_f64 v[22:23], v[48:49], v[22:23]
	v_mul_f64 v[26:27], v[50:51], v[26:27]
	v_mul_f64 v[30:31], v[44:45], v[30:31]
	v_mul_f64 v[34:35], v[46:47], v[34:35]
	s_waitcnt lgkmcnt(0)
	s_barrier
	buffer_gl0_inv
	v_fma_f64 v[2:3], v[2:3], v[16:17], -v[18:19]
	v_fma_f64 v[16:17], v[40:41], v[20:21], -v[22:23]
	;; [unrolled: 1-line block ×5, first 2 shown]
	v_add_f64 v[2:3], v[68:69], -v[2:3]
	v_add_f64 v[16:17], v[70:71], -v[16:17]
	;; [unrolled: 1-line block ×5, first 2 shown]
	v_fma_f64 v[22:23], v[68:69], 2.0, -v[2:3]
	v_fma_f64 v[24:25], v[70:71], 2.0, -v[16:17]
	;; [unrolled: 1-line block ×5, first 2 shown]
	ds_write2_b64 v93, v[22:23], v[2:3] offset1:11
	ds_write2_b64 v62, v[24:25], v[16:17] offset1:11
	;; [unrolled: 1-line block ×5, first 2 shown]
	s_waitcnt lgkmcnt(0)
	s_barrier
	buffer_gl0_inv
	ds_read2_b64 v[0:3], v91 offset1:198
	ds_read2_b64 v[20:23], v79 offset0:20 offset1:218
	ds_read2_b64 v[16:19], v81 offset0:40 offset1:238
	ds_read_b64 v[32:33], v91 offset:3168
	ds_read_b64 v[28:29], v91 offset:8448
	;; [unrolled: 1-line block ×3, first 2 shown]
                                        ; implicit-def: $vgpr24_vgpr25
	s_and_saveexec_b32 s1, s0
	s_cbranch_execz .LBB0_19
; %bb.18:
	ds_read_b64 v[26:27], v91 offset:4752
	ds_read_b64 v[87:88], v91 offset:10032
	;; [unrolled: 1-line block ×3, first 2 shown]
.LBB0_19:
	s_or_b32 exec_lo, exec_lo, s1
	v_lshrrev_b16 v34, 1, v76
	v_mov_b32_e32 v35, 0xba2f
	v_mov_b32_e32 v42, 5
	s_mov_b32 s4, 0xe8584caa
	s_mov_b32 s5, 0xbfebb67a
	v_and_b32_e32 v34, 0x7f, v34
	v_mul_u32_u24_sdwa v36, v84, v35 dst_sel:DWORD dst_unused:UNUSED_PAD src0_sel:WORD_0 src1_sel:DWORD
	v_mul_u32_u24_sdwa v37, v82, v35 dst_sel:DWORD dst_unused:UNUSED_PAD src0_sel:WORD_0 src1_sel:DWORD
	v_mul_u32_u24_sdwa v35, v80, v35 dst_sel:DWORD dst_unused:UNUSED_PAD src0_sel:WORD_0 src1_sel:DWORD
	s_mov_b32 s7, 0x3febb67a
	v_mul_lo_u16 v34, 0xbb, v34
	v_lshrrev_b32_e32 v71, 20, v36
	v_lshrrev_b32_e32 v81, 20, v37
	;; [unrolled: 1-line block ×3, first 2 shown]
	s_mov_b32 s6, s4
	v_lshrrev_b16 v79, 11, v34
	v_mul_lo_u16 v34, v71, 22
	v_mul_lo_u16 v36, v81, 22
	;; [unrolled: 1-line block ×3, first 2 shown]
	v_sub_nc_u16 v118, v84, v34
	v_mul_lo_u16 v34, v83, 22
	v_sub_nc_u16 v120, v82, v36
	v_sub_nc_u16 v119, v76, v35
	v_lshlrev_b32_sdwa v38, v42, v118 dst_sel:DWORD dst_unused:UNUSED_PAD src0_sel:DWORD src1_sel:WORD_0
	v_sub_nc_u16 v66, v80, v34
	v_lshlrev_b32_sdwa v44, v42, v120 dst_sel:DWORD dst_unused:UNUSED_PAD src0_sel:DWORD src1_sel:WORD_0
	s_clause 0x1
	global_load_dwordx4 v[34:37], v38, s[12:13] offset:192
	global_load_dwordx4 v[38:41], v38, s[12:13] offset:176
	v_lshlrev_b32_sdwa v43, v42, v119 dst_sel:DWORD dst_unused:UNUSED_PAD src0_sel:DWORD src1_sel:BYTE_0
	v_lshlrev_b32_sdwa v42, v42, v66 dst_sel:DWORD dst_unused:UNUSED_PAD src0_sel:DWORD src1_sel:WORD_0
	s_clause 0x5
	global_load_dwordx4 v[67:70], v43, s[12:13] offset:176
	global_load_dwordx4 v[92:95], v43, s[12:13] offset:192
	;; [unrolled: 1-line block ×6, first 2 shown]
	s_waitcnt vmcnt(0) lgkmcnt(0)
	s_barrier
	buffer_gl0_inv
	v_mul_f64 v[44:45], v[18:19], v[36:37]
	v_mul_f64 v[42:43], v[22:23], v[40:41]
	;; [unrolled: 1-line block ×16, first 2 shown]
	v_fma_f64 v[36:37], v[10:11], v[38:39], v[42:43]
	v_fma_f64 v[42:43], v[14:15], v[34:35], v[44:45]
	;; [unrolled: 1-line block ×8, first 2 shown]
	v_fma_f64 v[56:57], v[22:23], v[38:39], -v[40:41]
	v_fma_f64 v[18:19], v[18:19], v[34:35], -v[116:117]
	;; [unrolled: 1-line block ×8, first 2 shown]
	v_add_f64 v[24:25], v[6:7], v[36:37]
	v_add_f64 v[8:9], v[36:37], v[42:43]
	;; [unrolled: 1-line block ×8, first 2 shown]
	v_add_f64 v[28:29], v[56:57], -v[18:19]
	v_add_f64 v[40:41], v[64:65], -v[60:61]
	v_add_f64 v[69:70], v[24:25], v[42:43]
	v_fma_f64 v[6:7], v[8:9], -0.5, v[6:7]
	v_add_f64 v[8:9], v[20:21], -v[16:17]
	v_fma_f64 v[4:5], v[10:11], -0.5, v[4:5]
	v_add_f64 v[10:11], v[58:59], -v[22:23]
	v_add_f64 v[85:86], v[30:31], v[50:51]
	v_fma_f64 v[14:15], v[14:15], -0.5, v[89:90]
	v_fma_f64 v[12:13], v[12:13], -0.5, v[52:53]
	v_add_f64 v[24:25], v[34:35], v[48:49]
	v_add_f64 v[34:35], v[38:39], v[62:63]
	v_mov_b32_e32 v52, 0x210
	v_fma_f64 v[38:39], v[28:29], s[4:5], v[6:7]
	v_fma_f64 v[6:7], v[28:29], s[6:7], v[6:7]
	;; [unrolled: 1-line block ×4, first 2 shown]
	v_mov_b32_e32 v4, 3
	v_fma_f64 v[30:31], v[40:41], s[4:5], v[14:15]
	v_fma_f64 v[28:29], v[40:41], s[6:7], v[14:15]
	;; [unrolled: 1-line block ×4, first 2 shown]
	v_mul_u32_u24_e32 v5, 0x210, v71
	v_mul_u32_u24_e32 v12, 0x210, v81
	v_mul_u32_u24_sdwa v13, v79, v52 dst_sel:DWORD dst_unused:UNUSED_PAD src0_sel:WORD_0 src1_sel:DWORD
	v_lshlrev_b32_sdwa v14, v4, v118 dst_sel:DWORD dst_unused:UNUSED_PAD src0_sel:DWORD src1_sel:WORD_0
	v_lshlrev_b32_sdwa v15, v4, v119 dst_sel:DWORD dst_unused:UNUSED_PAD src0_sel:DWORD src1_sel:BYTE_0
	v_lshlrev_b32_sdwa v40, v4, v120 dst_sel:DWORD dst_unused:UNUSED_PAD src0_sel:DWORD src1_sel:WORD_0
	v_mul_lo_u16 v52, 0x42, v83
	v_add3_u32 v53, 0, v5, v14
	v_add3_u32 v68, 0, v13, v15
	;; [unrolled: 1-line block ×3, first 2 shown]
	ds_write2_b64 v68, v[34:35], v[87:88] offset1:22
	ds_write_b64 v68, v[8:9] offset:352
	ds_write2_b64 v53, v[69:70], v[38:39] offset1:22
	ds_write_b64 v53, v[6:7] offset:352
	;; [unrolled: 2-line block ×3, first 2 shown]
	s_and_saveexec_b32 s1, s0
	s_cbranch_execz .LBB0_21
; %bb.20:
	v_lshlrev_b32_sdwa v5, v4, v66 dst_sel:DWORD dst_unused:UNUSED_PAD src0_sel:DWORD src1_sel:WORD_0
	v_lshlrev_b32_sdwa v4, v4, v52 dst_sel:DWORD dst_unused:UNUSED_PAD src0_sel:DWORD src1_sel:WORD_0
	v_add3_u32 v4, 0, v5, v4
	ds_write2_b64 v4, v[24:25], v[30:31] offset1:22
	ds_write_b64 v4, v[28:29] offset:352
.LBB0_21:
	s_or_b32 exec_lo, exec_lo, s1
	v_add_nc_u32_e32 v8, 0x1400, v91
	v_add_nc_u32_e32 v12, 0x2800, v91
	s_waitcnt lgkmcnt(0)
	s_barrier
	buffer_gl0_inv
	ds_read2_b64 v[4:7], v91 offset1:198
	ds_read2_b64 v[8:11], v8 offset0:20 offset1:218
	ds_read2_b64 v[12:15], v12 offset0:40 offset1:238
	ds_read_b64 v[34:35], v91 offset:3168
	ds_read_b64 v[38:39], v91 offset:8448
	;; [unrolled: 1-line block ×3, first 2 shown]
	s_and_saveexec_b32 s1, s0
	s_cbranch_execz .LBB0_23
; %bb.22:
	ds_read_b64 v[24:25], v91 offset:4752
	ds_read_b64 v[30:31], v91 offset:10032
	;; [unrolled: 1-line block ×3, first 2 shown]
.LBB0_23:
	s_or_b32 exec_lo, exec_lo, s1
	v_add_f64 v[69:70], v[20:21], v[16:17]
	v_add_f64 v[85:86], v[56:57], v[18:19]
	;; [unrolled: 1-line block ×5, first 2 shown]
	v_add_f64 v[54:55], v[54:55], -v[62:63]
	v_add_f64 v[56:57], v[2:3], v[56:57]
	v_add_f64 v[58:59], v[32:33], v[58:59]
	;; [unrolled: 1-line block ×3, first 2 shown]
	v_add_f64 v[36:37], v[36:37], -v[42:43]
	v_add_f64 v[42:43], v[46:47], -v[50:51]
	;; [unrolled: 1-line block ×3, first 2 shown]
	s_mov_b32 s4, 0xe8584caa
	s_mov_b32 s5, 0x3febb67a
	;; [unrolled: 1-line block ×4, first 2 shown]
	s_waitcnt lgkmcnt(0)
	s_barrier
	buffer_gl0_inv
	v_fma_f64 v[0:1], v[69:70], -0.5, v[0:1]
	v_fma_f64 v[2:3], v[85:86], -0.5, v[2:3]
	;; [unrolled: 1-line block ×4, first 2 shown]
	v_add_f64 v[16:17], v[20:21], v[16:17]
	v_add_f64 v[18:19], v[56:57], v[18:19]
	;; [unrolled: 1-line block ×4, first 2 shown]
	v_fma_f64 v[22:23], v[54:55], s[4:5], v[0:1]
	v_fma_f64 v[48:49], v[36:37], s[4:5], v[2:3]
	;; [unrolled: 1-line block ×8, first 2 shown]
	ds_write2_b64 v68, v[16:17], v[22:23] offset1:22
	ds_write_b64 v68, v[0:1] offset:352
	ds_write2_b64 v53, v[18:19], v[48:49] offset1:22
	ds_write_b64 v53, v[2:3] offset:352
	;; [unrolled: 2-line block ×3, first 2 shown]
	s_and_saveexec_b32 s1, s0
	s_cbranch_execz .LBB0_25
; %bb.24:
	v_mov_b32_e32 v0, 3
	v_lshlrev_b32_sdwa v1, v0, v66 dst_sel:DWORD dst_unused:UNUSED_PAD src0_sel:DWORD src1_sel:WORD_0
	v_lshlrev_b32_sdwa v0, v0, v52 dst_sel:DWORD dst_unused:UNUSED_PAD src0_sel:DWORD src1_sel:WORD_0
	v_add3_u32 v0, 0, v1, v0
	ds_write2_b64 v0, v[26:27], v[42:43] offset1:22
	ds_write_b64 v0, v[36:37] offset:352
.LBB0_25:
	s_or_b32 exec_lo, exec_lo, s1
	v_add_nc_u32_e32 v16, 0x1400, v91
	v_add_nc_u32_e32 v20, 0x2800, v91
	s_waitcnt lgkmcnt(0)
	s_barrier
	buffer_gl0_inv
	ds_read2_b64 v[0:3], v91 offset1:198
	ds_read2_b64 v[16:19], v16 offset0:20 offset1:218
	ds_read2_b64 v[20:23], v20 offset0:40 offset1:238
	ds_read_b64 v[32:33], v91 offset:3168
	ds_read_b64 v[46:47], v91 offset:8448
	;; [unrolled: 1-line block ×3, first 2 shown]
	s_and_saveexec_b32 s1, s0
	s_cbranch_execz .LBB0_27
; %bb.26:
	ds_read_b64 v[26:27], v91 offset:4752
	ds_read_b64 v[42:43], v91 offset:10032
	ds_read_b64 v[36:37], v91 offset:15312
.LBB0_27:
	s_or_b32 exec_lo, exec_lo, s1
	v_mov_b32_e32 v48, 0xf83f
	v_mul_lo_u16 v49, 0xf9, v77
	s_mov_b32 s4, 0xe8584caa
	s_mov_b32 s5, 0xbfebb67a
	s_mov_b32 s7, 0x3febb67a
	v_mul_u32_u24_sdwa v50, v84, v48 dst_sel:DWORD dst_unused:UNUSED_PAD src0_sel:WORD_0 src1_sel:DWORD
	v_mul_u32_u24_sdwa v51, v82, v48 dst_sel:DWORD dst_unused:UNUSED_PAD src0_sel:WORD_0 src1_sel:DWORD
	v_lshrrev_b16 v77, 14, v49
	v_mul_u32_u24_sdwa v48, v80, v48 dst_sel:DWORD dst_unused:UNUSED_PAD src0_sel:WORD_0 src1_sel:DWORD
	s_mov_b32 s6, s4
	v_lshrrev_b32_e32 v79, 22, v50
	v_lshrrev_b32_e32 v81, 22, v51
	v_mul_lo_u16 v49, 0x42, v77
	v_mov_b32_e32 v51, 5
	v_lshrrev_b32_e32 v48, 22, v48
	v_mul_lo_u16 v50, 0x42, v79
	v_mul_lo_u16 v52, 0x42, v81
	v_sub_nc_u16 v83, v76, v49
	v_mul_lo_u16 v48, 0x42, v48
	v_sub_nc_u16 v110, v84, v50
	v_sub_nc_u16 v111, v82, v52
	v_lshlrev_b32_sdwa v49, v51, v83 dst_sel:DWORD dst_unused:UNUSED_PAD src0_sel:DWORD src1_sel:BYTE_0
	v_sub_nc_u16 v48, v80, v48
	v_lshlrev_b32_sdwa v50, v51, v110 dst_sel:DWORD dst_unused:UNUSED_PAD src0_sel:DWORD src1_sel:WORD_0
	v_lshlrev_b32_sdwa v51, v51, v111 dst_sel:DWORD dst_unused:UNUSED_PAD src0_sel:DWORD src1_sel:WORD_0
	s_clause 0x5
	global_load_dwordx4 v[56:59], v49, s[12:13] offset:880
	global_load_dwordx4 v[60:63], v49, s[12:13] offset:896
	;; [unrolled: 1-line block ×6, first 2 shown]
	v_and_b32_e32 v112, 0xffff, v48
	v_lshlrev_b32_e32 v48, 5, v112
	s_clause 0x1
	global_load_dwordx4 v[96:99], v48, s[12:13] offset:880
	global_load_dwordx4 v[100:103], v48, s[12:13] offset:896
	s_waitcnt vmcnt(0) lgkmcnt(0)
	s_barrier
	buffer_gl0_inv
	v_mul_f64 v[48:49], v[16:17], v[58:59]
	v_mul_f64 v[50:51], v[20:21], v[62:63]
	;; [unrolled: 1-line block ×12, first 2 shown]
	v_fma_f64 v[52:53], v[8:9], v[56:57], v[48:49]
	v_fma_f64 v[54:55], v[12:13], v[60:61], v[50:51]
	v_fma_f64 v[48:49], v[10:11], v[64:65], v[89:90]
	v_fma_f64 v[50:51], v[14:15], v[68:69], v[104:105]
	v_fma_f64 v[12:13], v[38:39], v[85:86], v[106:107]
	v_fma_f64 v[14:15], v[40:41], v[92:93], v[108:109]
	v_fma_f64 v[16:17], v[16:17], v[56:57], -v[58:59]
	v_fma_f64 v[8:9], v[20:21], v[60:61], -v[62:63]
	;; [unrolled: 1-line block ×6, first 2 shown]
	v_mul_f64 v[46:47], v[42:43], v[98:99]
	v_mul_f64 v[56:57], v[30:31], v[98:99]
	;; [unrolled: 1-line block ×3, first 2 shown]
	v_mov_b32_e32 v70, 0x630
	v_mov_b32_e32 v71, 3
	v_add_f64 v[60:61], v[4:5], v[52:53]
	v_add_f64 v[22:23], v[52:53], v[54:55]
	;; [unrolled: 1-line block ×6, first 2 shown]
	v_add_f64 v[62:63], v[16:17], -v[8:9]
	v_add_f64 v[68:69], v[18:19], -v[10:11]
	v_fma_f64 v[30:31], v[30:31], v[96:97], v[46:47]
	v_fma_f64 v[4:5], v[22:23], -0.5, v[4:5]
	v_fma_f64 v[22:23], v[42:43], v[96:97], -v[56:57]
	v_fma_f64 v[6:7], v[40:41], -0.5, v[6:7]
	v_add_f64 v[40:41], v[38:39], -v[20:21]
	v_fma_f64 v[34:35], v[44:45], -0.5, v[34:35]
	v_mul_f64 v[44:45], v[28:29], v[102:103]
	v_fma_f64 v[28:29], v[28:29], v[100:101], v[58:59]
	v_add_f64 v[42:43], v[60:61], v[54:55]
	v_add_f64 v[46:47], v[64:65], v[50:51]
	;; [unrolled: 1-line block ×3, first 2 shown]
	v_lshlrev_b32_sdwa v66, v71, v111 dst_sel:DWORD dst_unused:UNUSED_PAD src0_sel:DWORD src1_sel:WORD_0
	v_fma_f64 v[58:59], v[62:63], s[4:5], v[4:5]
	v_fma_f64 v[4:5], v[62:63], s[6:7], v[4:5]
	;; [unrolled: 1-line block ×6, first 2 shown]
	v_fma_f64 v[34:35], v[36:37], v[100:101], -v[44:45]
	v_mul_u32_u24_sdwa v36, v77, v70 dst_sel:DWORD dst_unused:UNUSED_PAD src0_sel:WORD_0 src1_sel:DWORD
	v_mul_u32_u24_e32 v37, 0x630, v79
	v_mul_u32_u24_e32 v44, 0x630, v81
	v_lshlrev_b32_sdwa v40, v71, v83 dst_sel:DWORD dst_unused:UNUSED_PAD src0_sel:DWORD src1_sel:BYTE_0
	v_lshlrev_b32_sdwa v45, v71, v110 dst_sel:DWORD dst_unused:UNUSED_PAD src0_sel:DWORD src1_sel:WORD_0
	v_add3_u32 v41, 0, v36, v40
	v_add3_u32 v40, 0, v37, v45
	;; [unrolled: 1-line block ×3, first 2 shown]
	v_lshl_add_u32 v36, v112, 3, 0
	ds_write2_b64 v41, v[42:43], v[58:59] offset1:66
	ds_write_b64 v41, v[4:5] offset:1056
	ds_write2_b64 v40, v[46:47], v[60:61] offset1:66
	ds_write_b64 v40, v[6:7] offset:1056
	;; [unrolled: 2-line block ×3, first 2 shown]
	s_and_saveexec_b32 s1, s0
	s_cbranch_execz .LBB0_29
; %bb.28:
	v_add_f64 v[4:5], v[30:31], v[28:29]
	v_add_f64 v[6:7], v[22:23], -v[34:35]
	v_add_f64 v[42:43], v[24:25], v[30:31]
	v_fma_f64 v[4:5], v[4:5], -0.5, v[24:25]
	v_add_f64 v[24:25], v[42:43], v[28:29]
	v_fma_f64 v[42:43], v[6:7], s[4:5], v[4:5]
	v_fma_f64 v[4:5], v[6:7], s[6:7], v[4:5]
	v_add_nc_u32_e32 v6, 0x3400, v36
	ds_write2_b64 v6, v[24:25], v[42:43] offset0:118 offset1:184
	ds_write_b64 v36, v[4:5] offset:15312
.LBB0_29:
	s_or_b32 exec_lo, exec_lo, s1
	v_add_f64 v[4:5], v[16:17], v[8:9]
	v_add_f64 v[6:7], v[18:19], v[10:11]
	;; [unrolled: 1-line block ×4, first 2 shown]
	v_add_f64 v[42:43], v[52:53], -v[54:55]
	v_add_f64 v[38:39], v[32:33], v[38:39]
	v_add_f64 v[18:19], v[2:3], v[18:19]
	v_add_f64 v[46:47], v[48:49], -v[50:51]
	v_add_f64 v[12:13], v[12:13], -v[14:15]
	s_waitcnt lgkmcnt(0)
	s_barrier
	buffer_gl0_inv
	v_fma_f64 v[44:45], v[4:5], -0.5, v[0:1]
	v_fma_f64 v[48:49], v[6:7], -0.5, v[2:3]
	;; [unrolled: 1-line block ×3, first 2 shown]
	v_add_nc_u32_e32 v24, 0xc00, v91
	v_add_nc_u32_e32 v25, 0x1800, v91
	;; [unrolled: 1-line block ×4, first 2 shown]
	v_add_f64 v[50:51], v[16:17], v[8:9]
	v_add_f64 v[20:21], v[38:39], v[20:21]
	ds_read2_b64 v[0:3], v91 offset1:198
	ds_read2_b64 v[4:7], v24 offset0:12 offset1:210
	v_add_f64 v[52:53], v[18:19], v[10:11]
	v_fma_f64 v[38:39], v[42:43], s[6:7], v[44:45]
	v_fma_f64 v[42:43], v[42:43], s[4:5], v[44:45]
	;; [unrolled: 1-line block ×6, first 2 shown]
	ds_read2_b64 v[8:11], v25 offset0:24 offset1:222
	ds_read2_b64 v[12:15], v32 offset0:36 offset1:234
	;; [unrolled: 1-line block ×3, first 2 shown]
	s_waitcnt lgkmcnt(0)
	s_barrier
	buffer_gl0_inv
	ds_write2_b64 v41, v[50:51], v[38:39] offset1:66
	ds_write_b64 v41, v[42:43] offset:1056
	ds_write2_b64 v40, v[52:53], v[44:45] offset1:66
	ds_write_b64 v40, v[46:47] offset:1056
	;; [unrolled: 2-line block ×3, first 2 shown]
	s_and_saveexec_b32 s1, s0
	s_cbranch_execz .LBB0_31
; %bb.30:
	v_add_f64 v[20:21], v[22:23], v[34:35]
	v_add_f64 v[28:29], v[30:31], -v[28:29]
	v_add_f64 v[22:23], v[26:27], v[22:23]
	s_mov_b32 s5, 0x3febb67a
	s_mov_b32 s4, 0xe8584caa
	v_fma_f64 v[20:21], v[20:21], -0.5, v[26:27]
	v_add_f64 v[22:23], v[22:23], v[34:35]
	v_fma_f64 v[26:27], v[28:29], s[4:5], v[20:21]
	s_mov_b32 s5, 0xbfebb67a
	v_fma_f64 v[20:21], v[28:29], s[4:5], v[20:21]
	v_add_nc_u32_e32 v28, 0x3400, v36
	ds_write2_b64 v28, v[22:23], v[26:27] offset0:118 offset1:184
	ds_write_b64 v36, v[20:21] offset:15312
.LBB0_31:
	s_or_b32 exec_lo, exec_lo, s1
	v_lshlrev_b32_e32 v20, 2, v76
	v_mov_b32_e32 v21, 0
	s_waitcnt lgkmcnt(0)
	s_barrier
	buffer_gl0_inv
	s_mov_b32 s6, 0x134454ff
	v_lshlrev_b64 v[22:23], 4, v[20:21]
	s_mov_b32 s7, 0xbfee6f0e
	s_mov_b32 s15, 0x3fee6f0e
	;; [unrolled: 1-line block ×5, first 2 shown]
	v_add_co_u32 v20, s0, s12, v22
	v_add_co_ci_u32_e64 v26, s0, s13, v23, s0
	s_mov_b32 s9, 0x3fe2cf23
	v_add_co_u32 v22, s0, 0x800, v20
	v_add_co_ci_u32_e64 v23, s0, 0, v26, s0
	v_add_co_u32 v30, s0, 0xbb0, v20
	v_add_co_ci_u32_e64 v31, s0, 0, v26, s0
	s_clause 0x3
	global_load_dwordx4 v[26:29], v[22:23], off offset:944
	global_load_dwordx4 v[34:37], v[30:31], off offset:16
	;; [unrolled: 1-line block ×4, first 2 shown]
	ds_read2_b64 v[46:49], v24 offset0:12 offset1:210
	ds_read2_b64 v[50:53], v25 offset0:24 offset1:222
	;; [unrolled: 1-line block ×4, first 2 shown]
	ds_read2_b64 v[62:65], v91 offset1:198
	s_mov_b32 s8, s4
	s_mov_b32 s0, 0x372fe950
	;; [unrolled: 1-line block ×3, first 2 shown]
	s_waitcnt vmcnt(0) lgkmcnt(0)
	s_barrier
	buffer_gl0_inv
	v_mul_f64 v[22:23], v[46:47], v[28:29]
	v_mul_f64 v[66:67], v[50:51], v[36:37]
	;; [unrolled: 1-line block ×16, first 2 shown]
	v_fma_f64 v[4:5], v[4:5], v[26:27], v[22:23]
	v_fma_f64 v[8:9], v[8:9], v[34:35], v[66:67]
	;; [unrolled: 1-line block ×8, first 2 shown]
	v_fma_f64 v[22:23], v[46:47], v[26:27], -v[30:31]
	v_fma_f64 v[30:31], v[50:51], v[34:35], -v[68:69]
	;; [unrolled: 1-line block ×8, first 2 shown]
	v_add_f64 v[38:39], v[0:1], v[4:5]
	v_add_f64 v[48:49], v[4:5], -v[8:9]
	v_add_f64 v[40:41], v[8:9], v[12:13]
	v_add_f64 v[54:55], v[4:5], v[16:17]
	v_add_f64 v[52:53], v[16:17], -v[12:13]
	v_add_f64 v[56:57], v[8:9], -v[4:5]
	v_add_f64 v[66:67], v[10:11], v[14:15]
	v_add_f64 v[70:71], v[6:7], v[18:19]
	v_add_f64 v[58:59], v[12:13], -v[16:17]
	v_add_f64 v[60:61], v[62:63], v[22:23]
	v_add_f64 v[68:69], v[30:31], v[46:47]
	;; [unrolled: 3-line block ×3, first 2 shown]
	v_add_f64 v[104:105], v[28:29], v[34:35]
	v_add_f64 v[108:109], v[26:27], v[36:37]
	v_add_f64 v[44:45], v[30:31], -v[46:47]
	v_add_f64 v[87:88], v[22:23], -v[30:31]
	v_add_f64 v[89:90], v[50:51], -v[46:47]
	v_add_f64 v[98:99], v[26:27], -v[36:37]
	v_add_f64 v[100:101], v[28:29], -v[34:35]
	v_add_f64 v[4:5], v[4:5], -v[16:17]
	v_add_f64 v[85:86], v[8:9], -v[12:13]
	v_add_f64 v[22:23], v[30:31], -v[22:23]
	v_fma_f64 v[40:41], v[40:41], -0.5, v[0:1]
	v_fma_f64 v[0:1], v[54:55], -0.5, v[0:1]
	v_add_f64 v[102:103], v[6:7], -v[10:11]
	v_add_f64 v[110:111], v[10:11], -v[6:7]
	v_fma_f64 v[66:67], v[66:67], -0.5, v[2:3]
	v_fma_f64 v[2:3], v[70:71], -0.5, v[2:3]
	v_add_f64 v[54:55], v[64:65], v[26:27]
	v_add_f64 v[6:7], v[6:7], -v[18:19]
	v_add_f64 v[70:71], v[10:11], -v[14:15]
	v_add_f64 v[8:9], v[38:39], v[8:9]
	v_fma_f64 v[38:39], v[68:69], -0.5, v[62:63]
	v_add_f64 v[48:49], v[48:49], v[52:53]
	v_fma_f64 v[52:53], v[92:93], -0.5, v[62:63]
	v_add_f64 v[56:57], v[56:57], v[58:59]
	v_add_f64 v[10:11], v[96:97], v[10:11]
	v_fma_f64 v[58:59], v[104:105], -0.5, v[64:65]
	v_add_f64 v[30:31], v[60:61], v[30:31]
	v_fma_f64 v[60:61], v[108:109], -0.5, v[64:65]
	v_add_f64 v[94:95], v[46:47], -v[50:51]
	v_add_f64 v[106:107], v[18:19], -v[14:15]
	;; [unrolled: 1-line block ×3, first 2 shown]
	v_add_f64 v[62:63], v[87:88], v[89:90]
	v_fma_f64 v[64:65], v[42:43], s[6:7], v[40:41]
	v_fma_f64 v[40:41], v[42:43], s[14:15], v[40:41]
	;; [unrolled: 1-line block ×8, first 2 shown]
	v_add_f64 v[114:115], v[26:27], -v[28:29]
	v_add_f64 v[116:117], v[36:37], -v[34:35]
	;; [unrolled: 1-line block ×4, first 2 shown]
	v_add_f64 v[28:29], v[54:55], v[28:29]
	v_add_f64 v[8:9], v[8:9], v[12:13]
	v_fma_f64 v[12:13], v[4:5], s[14:15], v[38:39]
	v_fma_f64 v[38:39], v[4:5], s[6:7], v[38:39]
	;; [unrolled: 1-line block ×4, first 2 shown]
	v_add_f64 v[10:11], v[10:11], v[14:15]
	v_fma_f64 v[14:15], v[6:7], s[14:15], v[58:59]
	v_fma_f64 v[58:59], v[6:7], s[6:7], v[58:59]
	;; [unrolled: 1-line block ×8, first 2 shown]
	v_add_f64 v[22:23], v[22:23], v[94:95]
	v_add_f64 v[92:93], v[102:103], v[106:107]
	;; [unrolled: 1-line block ×3, first 2 shown]
	v_fma_f64 v[42:43], v[100:101], s[4:5], v[87:88]
	v_fma_f64 v[68:69], v[98:99], s[4:5], v[89:90]
	;; [unrolled: 1-line block ×4, first 2 shown]
	v_add_f64 v[87:88], v[114:115], v[116:117]
	v_add_f64 v[26:27], v[26:27], v[118:119]
	;; [unrolled: 1-line block ×5, first 2 shown]
	v_fma_f64 v[12:13], v[85:86], s[8:9], v[12:13]
	v_fma_f64 v[16:17], v[85:86], s[4:5], v[38:39]
	;; [unrolled: 1-line block ×4, first 2 shown]
	v_add_f64 v[10:11], v[10:11], v[18:19]
	v_fma_f64 v[14:15], v[70:71], s[8:9], v[14:15]
	v_fma_f64 v[18:19], v[70:71], s[4:5], v[58:59]
	;; [unrolled: 1-line block ×12, first 2 shown]
	ds_write2_b64 v91, v[8:9], v[46:47] offset1:198
	ds_write2_b64 v24, v[44:45], v[0:1] offset0:12 offset1:210
	ds_write2_b64 v25, v[40:41], v[10:11] offset0:24 offset1:222
	;; [unrolled: 1-line block ×4, first 2 shown]
	v_add_f64 v[30:31], v[30:31], v[50:51]
	v_add_f64 v[28:29], v[28:29], v[36:37]
	v_fma_f64 v[36:37], v[62:63], s[0:1], v[12:13]
	v_fma_f64 v[50:51], v[62:63], s[0:1], v[16:17]
	;; [unrolled: 1-line block ×8, first 2 shown]
	s_waitcnt lgkmcnt(0)
	s_barrier
	buffer_gl0_inv
	ds_read2_b64 v[0:3], v91 offset1:198
	ds_read2_b64 v[8:11], v25 offset0:24 offset1:222
	ds_read2_b64 v[12:15], v32 offset0:36 offset1:234
	;; [unrolled: 1-line block ×4, first 2 shown]
	s_waitcnt lgkmcnt(0)
	s_barrier
	buffer_gl0_inv
	ds_write2_b64 v91, v[30:31], v[36:37] offset1:198
	ds_write2_b64 v24, v[34:35], v[22:23] offset0:12 offset1:210
	ds_write2_b64 v25, v[50:51], v[28:29] offset0:24 offset1:222
	ds_write2_b64 v32, v[54:55], v[38:39] offset0:36 offset1:234
	ds_write2_b64 v33, v[26:27], v[56:57] offset0:48 offset1:246
	s_waitcnt lgkmcnt(0)
	s_barrier
	buffer_gl0_inv
	s_and_saveexec_b32 s0, vcc_lo
	s_cbranch_execz .LBB0_33
; %bb.32:
	v_mov_b32_e32 v79, v21
	v_mov_b32_e32 v81, v21
	;; [unrolled: 1-line block ×5, first 2 shown]
	v_lshlrev_b64 v[22:23], 4, v[78:79]
	v_lshlrev_b64 v[24:25], 4, v[80:81]
	;; [unrolled: 1-line block ×3, first 2 shown]
	v_add_nc_u32_e32 v46, 0x1800, v91
	v_lshlrev_b64 v[62:63], 4, v[76:77]
	v_mul_hi_u32 v54, 0x21195767, v82
	v_add_co_u32 v20, vcc_lo, s12, v22
	v_add_co_ci_u32_e32 v23, vcc_lo, s13, v23, vcc_lo
	v_mul_lo_u32 v58, s3, v74
	v_add_co_u32 v22, vcc_lo, 0x3800, v20
	v_add_co_ci_u32_e32 v23, vcc_lo, 0, v23, vcc_lo
	v_add_co_u32 v20, vcc_lo, s12, v24
	v_add_co_ci_u32_e32 v29, vcc_lo, s13, v25, vcc_lo
	global_load_dwordx4 v[22:25], v[22:23], off offset:1328
	v_add_co_u32 v28, vcc_lo, 0x3800, v20
	v_add_co_ci_u32_e32 v29, vcc_lo, 0, v29, vcc_lo
	v_add_co_u32 v20, vcc_lo, s12, v26
	v_add_co_ci_u32_e32 v31, vcc_lo, s13, v27, vcc_lo
	v_lshlrev_b64 v[26:27], 4, v[84:85]
	v_add_co_u32 v30, vcc_lo, 0x3800, v20
	v_add_co_ci_u32_e32 v31, vcc_lo, 0, v31, vcc_lo
	v_mul_lo_u32 v59, s2, v75
	v_add_co_u32 v20, vcc_lo, s12, v26
	v_add_co_ci_u32_e32 v26, vcc_lo, s13, v27, vcc_lo
	v_add_co_u32 v27, vcc_lo, s12, v62
	v_add_co_ci_u32_e32 v32, vcc_lo, s13, v63, vcc_lo
	v_add_co_u32 v34, vcc_lo, 0x3800, v20
	v_add_co_ci_u32_e32 v35, vcc_lo, 0, v26, vcc_lo
	v_add_co_u32 v38, vcc_lo, 0x3800, v27
	v_add_co_ci_u32_e32 v39, vcc_lo, 0, v32, vcc_lo
	s_clause 0x3
	global_load_dwordx4 v[26:29], v[28:29], off offset:1328
	global_load_dwordx4 v[30:33], v[30:31], off offset:1328
	;; [unrolled: 1-line block ×4, first 2 shown]
	v_add_nc_u32_e32 v20, 0x3000, v91
	v_mad_u64_u32 v[64:65], null, s2, v74, 0
	v_mul_hi_u32 v68, 0x21195767, v80
	v_lshlrev_b64 v[66:67], 4, v[72:73]
	ds_read2_b64 v[42:45], v20 offset0:48 offset1:246
	v_add_nc_u32_e32 v20, 0x2400, v91
	ds_read2_b64 v[46:49], v46 offset0:24 offset1:222
	ds_read2_b64 v[50:53], v20 offset0:36 offset1:234
	v_lshrrev_b32_e32 v20, 7, v54
	v_mul_hi_u32 v69, 0x21195767, v78
	v_add3_u32 v65, v65, v59, v58
	v_lshrrev_b32_e32 v79, 7, v68
	v_add_nc_u32_e32 v60, 0xc00, v91
	v_mad_u32_u24 v20, 0x3de, v20, v82
	ds_read2_b64 v[54:57], v91 offset1:198
	v_lshlrev_b64 v[64:65], 4, v[64:65]
	v_lshrrev_b32_e32 v83, 7, v69
	v_lshlrev_b64 v[68:69], 4, v[20:21]
	v_mad_u32_u24 v20, 0x3de, v79, v80
	ds_read2_b64 v[58:61], v60 offset0:12 offset1:210
	v_add_co_u32 v79, vcc_lo, s10, v64
	v_add_co_ci_u32_e32 v80, vcc_lo, s11, v65, vcc_lo
	v_lshlrev_b64 v[64:65], 4, v[20:21]
	v_mad_u32_u24 v20, 0x3de, v83, v78
	v_add_co_u32 v78, vcc_lo, v79, v66
	v_add_co_ci_u32_e32 v79, vcc_lo, v80, v67, vcc_lo
	v_lshlrev_b64 v[66:67], 4, v[20:21]
	s_waitcnt vmcnt(4)
	v_mul_f64 v[70:71], v[18:19], v[24:25]
	s_waitcnt lgkmcnt(4)
	v_mul_f64 v[24:25], v[44:45], v[24:25]
	v_fma_f64 v[20:21], v[44:45], v[22:23], -v[70:71]
	v_fma_f64 v[18:19], v[18:19], v[22:23], v[24:25]
	s_waitcnt vmcnt(3)
	v_mul_f64 v[72:73], v[16:17], v[28:29]
	v_mul_f64 v[28:29], v[42:43], v[28:29]
	s_waitcnt vmcnt(2)
	v_mul_f64 v[74:75], v[14:15], v[32:33]
	s_waitcnt vmcnt(1)
	;; [unrolled: 2-line block ×3, first 2 shown]
	v_mul_f64 v[81:82], v[10:11], v[40:41]
	s_waitcnt lgkmcnt(3)
	v_mul_f64 v[40:41], v[48:49], v[40:41]
	s_waitcnt lgkmcnt(2)
	v_mul_f64 v[36:37], v[50:51], v[36:37]
	v_mul_f64 v[32:33], v[52:53], v[32:33]
	v_fma_f64 v[22:23], v[42:43], v[26:27], -v[72:73]
	v_fma_f64 v[24:25], v[16:17], v[26:27], v[28:29]
	v_fma_f64 v[26:27], v[52:53], v[30:31], -v[74:75]
	v_fma_f64 v[28:29], v[50:51], v[34:35], -v[76:77]
	v_fma_f64 v[42:43], v[48:49], v[38:39], -v[81:82]
	v_fma_f64 v[38:39], v[10:11], v[38:39], v[40:41]
	v_fma_f64 v[34:35], v[12:13], v[34:35], v[36:37]
	;; [unrolled: 1-line block ×3, first 2 shown]
	v_add_f64 v[12:13], v[46:47], -v[20:21]
	v_add_f64 v[10:11], v[8:9], -v[18:19]
	v_add_co_u32 v48, vcc_lo, v78, v62
	v_add_co_ci_u32_e32 v49, vcc_lo, v79, v63, vcc_lo
	v_add_co_u32 v50, vcc_lo, v78, v68
	v_add_co_ci_u32_e32 v51, vcc_lo, v79, v69, vcc_lo
	;; [unrolled: 2-line block ×3, first 2 shown]
	s_waitcnt lgkmcnt(0)
	v_add_f64 v[16:17], v[60:61], -v[22:23]
	v_add_f64 v[14:15], v[6:7], -v[24:25]
	v_add_f64 v[20:21], v[58:59], -v[26:27]
	v_add_f64 v[24:25], v[56:57], -v[28:29]
	v_add_f64 v[28:29], v[54:55], -v[42:43]
	v_add_f64 v[26:27], v[0:1], -v[38:39]
	v_add_f64 v[22:23], v[2:3], -v[34:35]
	v_add_f64 v[18:19], v[4:5], -v[30:31]
	v_add_co_u32 v62, vcc_lo, 0x3800, v48
	v_add_co_ci_u32_e32 v63, vcc_lo, 0, v49, vcc_lo
	v_add_co_u32 v64, vcc_lo, 0x800, v48
	v_fma_f64 v[30:31], v[8:9], 2.0, -v[10:11]
	v_add_co_ci_u32_e32 v65, vcc_lo, 0, v49, vcc_lo
	v_add_co_u32 v68, vcc_lo, 0x4800, v48
	v_fma_f64 v[32:33], v[46:47], 2.0, -v[12:13]
	v_add_co_ci_u32_e32 v69, vcc_lo, 0, v49, vcc_lo
	v_fma_f64 v[8:9], v[60:61], 2.0, -v[16:17]
	v_fma_f64 v[6:7], v[6:7], 2.0, -v[14:15]
	;; [unrolled: 1-line block ×8, first 2 shown]
	v_add_co_u32 v0, vcc_lo, 0x3800, v50
	v_add_co_ci_u32_e32 v1, vcc_lo, 0, v51, vcc_lo
	v_add_co_u32 v2, vcc_lo, v78, v66
	v_add_co_ci_u32_e32 v3, vcc_lo, v79, v67, vcc_lo
	;; [unrolled: 2-line block ×4, first 2 shown]
	global_store_dwordx4 v[62:63], v[26:29], off offset:1504
	global_store_dwordx4 v[68:69], v[22:25], off offset:576
	;; [unrolled: 1-line block ×3, first 2 shown]
	global_store_dwordx4 v[48:49], v[42:45], off
	global_store_dwordx4 v[64:65], v[38:41], off offset:1120
	global_store_dwordx4 v[50:51], v[34:37], off
	global_store_dwordx4 v[52:53], v[6:9], off
	global_store_dwordx4 v[4:5], v[14:17], off offset:1504
	global_store_dwordx4 v[2:3], v[30:33], off
	global_store_dwordx4 v[46:47], v[10:13], off offset:1504
.LBB0_33:
	s_endpgm
	.section	.rodata,"a",@progbits
	.p2align	6, 0x0
	.amdhsa_kernel fft_rtc_back_len1980_factors_11_2_3_3_5_2_wgs_198_tpt_198_halfLds_dp_op_CI_CI_unitstride_sbrr_dirReg
		.amdhsa_group_segment_fixed_size 0
		.amdhsa_private_segment_fixed_size 0
		.amdhsa_kernarg_size 104
		.amdhsa_user_sgpr_count 6
		.amdhsa_user_sgpr_private_segment_buffer 1
		.amdhsa_user_sgpr_dispatch_ptr 0
		.amdhsa_user_sgpr_queue_ptr 0
		.amdhsa_user_sgpr_kernarg_segment_ptr 1
		.amdhsa_user_sgpr_dispatch_id 0
		.amdhsa_user_sgpr_flat_scratch_init 0
		.amdhsa_user_sgpr_private_segment_size 0
		.amdhsa_wavefront_size32 1
		.amdhsa_uses_dynamic_stack 0
		.amdhsa_system_sgpr_private_segment_wavefront_offset 0
		.amdhsa_system_sgpr_workgroup_id_x 1
		.amdhsa_system_sgpr_workgroup_id_y 0
		.amdhsa_system_sgpr_workgroup_id_z 0
		.amdhsa_system_sgpr_workgroup_info 0
		.amdhsa_system_vgpr_workitem_id 0
		.amdhsa_next_free_vgpr 126
		.amdhsa_next_free_sgpr 40
		.amdhsa_reserve_vcc 1
		.amdhsa_reserve_flat_scratch 0
		.amdhsa_float_round_mode_32 0
		.amdhsa_float_round_mode_16_64 0
		.amdhsa_float_denorm_mode_32 3
		.amdhsa_float_denorm_mode_16_64 3
		.amdhsa_dx10_clamp 1
		.amdhsa_ieee_mode 1
		.amdhsa_fp16_overflow 0
		.amdhsa_workgroup_processor_mode 1
		.amdhsa_memory_ordered 1
		.amdhsa_forward_progress 0
		.amdhsa_shared_vgpr_count 0
		.amdhsa_exception_fp_ieee_invalid_op 0
		.amdhsa_exception_fp_denorm_src 0
		.amdhsa_exception_fp_ieee_div_zero 0
		.amdhsa_exception_fp_ieee_overflow 0
		.amdhsa_exception_fp_ieee_underflow 0
		.amdhsa_exception_fp_ieee_inexact 0
		.amdhsa_exception_int_div_zero 0
	.end_amdhsa_kernel
	.text
.Lfunc_end0:
	.size	fft_rtc_back_len1980_factors_11_2_3_3_5_2_wgs_198_tpt_198_halfLds_dp_op_CI_CI_unitstride_sbrr_dirReg, .Lfunc_end0-fft_rtc_back_len1980_factors_11_2_3_3_5_2_wgs_198_tpt_198_halfLds_dp_op_CI_CI_unitstride_sbrr_dirReg
                                        ; -- End function
	.section	.AMDGPU.csdata,"",@progbits
; Kernel info:
; codeLenInByte = 11492
; NumSgprs: 42
; NumVgprs: 126
; ScratchSize: 0
; MemoryBound: 1
; FloatMode: 240
; IeeeMode: 1
; LDSByteSize: 0 bytes/workgroup (compile time only)
; SGPRBlocks: 5
; VGPRBlocks: 15
; NumSGPRsForWavesPerEU: 42
; NumVGPRsForWavesPerEU: 126
; Occupancy: 8
; WaveLimiterHint : 1
; COMPUTE_PGM_RSRC2:SCRATCH_EN: 0
; COMPUTE_PGM_RSRC2:USER_SGPR: 6
; COMPUTE_PGM_RSRC2:TRAP_HANDLER: 0
; COMPUTE_PGM_RSRC2:TGID_X_EN: 1
; COMPUTE_PGM_RSRC2:TGID_Y_EN: 0
; COMPUTE_PGM_RSRC2:TGID_Z_EN: 0
; COMPUTE_PGM_RSRC2:TIDIG_COMP_CNT: 0
	.text
	.p2alignl 6, 3214868480
	.fill 48, 4, 3214868480
	.type	__hip_cuid_ab70b525da5f8af4,@object ; @__hip_cuid_ab70b525da5f8af4
	.section	.bss,"aw",@nobits
	.globl	__hip_cuid_ab70b525da5f8af4
__hip_cuid_ab70b525da5f8af4:
	.byte	0                               ; 0x0
	.size	__hip_cuid_ab70b525da5f8af4, 1

	.ident	"AMD clang version 19.0.0git (https://github.com/RadeonOpenCompute/llvm-project roc-6.4.0 25133 c7fe45cf4b819c5991fe208aaa96edf142730f1d)"
	.section	".note.GNU-stack","",@progbits
	.addrsig
	.addrsig_sym __hip_cuid_ab70b525da5f8af4
	.amdgpu_metadata
---
amdhsa.kernels:
  - .args:
      - .actual_access:  read_only
        .address_space:  global
        .offset:         0
        .size:           8
        .value_kind:     global_buffer
      - .offset:         8
        .size:           8
        .value_kind:     by_value
      - .actual_access:  read_only
        .address_space:  global
        .offset:         16
        .size:           8
        .value_kind:     global_buffer
      - .actual_access:  read_only
        .address_space:  global
        .offset:         24
        .size:           8
        .value_kind:     global_buffer
      - .actual_access:  read_only
        .address_space:  global
        .offset:         32
        .size:           8
        .value_kind:     global_buffer
      - .offset:         40
        .size:           8
        .value_kind:     by_value
      - .actual_access:  read_only
        .address_space:  global
        .offset:         48
        .size:           8
        .value_kind:     global_buffer
      - .actual_access:  read_only
        .address_space:  global
        .offset:         56
        .size:           8
        .value_kind:     global_buffer
      - .offset:         64
        .size:           4
        .value_kind:     by_value
      - .actual_access:  read_only
        .address_space:  global
        .offset:         72
        .size:           8
        .value_kind:     global_buffer
      - .actual_access:  read_only
        .address_space:  global
        .offset:         80
        .size:           8
        .value_kind:     global_buffer
      - .actual_access:  read_only
        .address_space:  global
        .offset:         88
        .size:           8
        .value_kind:     global_buffer
      - .actual_access:  write_only
        .address_space:  global
        .offset:         96
        .size:           8
        .value_kind:     global_buffer
    .group_segment_fixed_size: 0
    .kernarg_segment_align: 8
    .kernarg_segment_size: 104
    .language:       OpenCL C
    .language_version:
      - 2
      - 0
    .max_flat_workgroup_size: 198
    .name:           fft_rtc_back_len1980_factors_11_2_3_3_5_2_wgs_198_tpt_198_halfLds_dp_op_CI_CI_unitstride_sbrr_dirReg
    .private_segment_fixed_size: 0
    .sgpr_count:     42
    .sgpr_spill_count: 0
    .symbol:         fft_rtc_back_len1980_factors_11_2_3_3_5_2_wgs_198_tpt_198_halfLds_dp_op_CI_CI_unitstride_sbrr_dirReg.kd
    .uniform_work_group_size: 1
    .uses_dynamic_stack: false
    .vgpr_count:     126
    .vgpr_spill_count: 0
    .wavefront_size: 32
    .workgroup_processor_mode: 1
amdhsa.target:   amdgcn-amd-amdhsa--gfx1030
amdhsa.version:
  - 1
  - 2
...

	.end_amdgpu_metadata
